;; amdgpu-corpus repo=ROCm/rocFFT kind=compiled arch=gfx906 opt=O3
	.text
	.amdgcn_target "amdgcn-amd-amdhsa--gfx906"
	.amdhsa_code_object_version 6
	.protected	fft_rtc_back_len1440_factors_10_16_3_3_wgs_90_tpt_90_halfLds_sp_ip_CI_unitstride_sbrr_dirReg ; -- Begin function fft_rtc_back_len1440_factors_10_16_3_3_wgs_90_tpt_90_halfLds_sp_ip_CI_unitstride_sbrr_dirReg
	.globl	fft_rtc_back_len1440_factors_10_16_3_3_wgs_90_tpt_90_halfLds_sp_ip_CI_unitstride_sbrr_dirReg
	.p2align	8
	.type	fft_rtc_back_len1440_factors_10_16_3_3_wgs_90_tpt_90_halfLds_sp_ip_CI_unitstride_sbrr_dirReg,@function
fft_rtc_back_len1440_factors_10_16_3_3_wgs_90_tpt_90_halfLds_sp_ip_CI_unitstride_sbrr_dirReg: ; @fft_rtc_back_len1440_factors_10_16_3_3_wgs_90_tpt_90_halfLds_sp_ip_CI_unitstride_sbrr_dirReg
; %bb.0:
	s_load_dwordx2 s[12:13], s[4:5], 0x50
	s_load_dwordx4 s[8:11], s[4:5], 0x0
	s_load_dwordx2 s[2:3], s[4:5], 0x18
	v_mul_u32_u24_e32 v1, 0x2d9, v0
	v_add_u32_sdwa v5, s6, v1 dst_sel:DWORD dst_unused:UNUSED_PAD src0_sel:DWORD src1_sel:WORD_1
	v_mov_b32_e32 v3, 0
	s_waitcnt lgkmcnt(0)
	v_cmp_lt_u64_e64 s[0:1], s[10:11], 2
	v_mov_b32_e32 v1, 0
	v_mov_b32_e32 v6, v3
	s_and_b64 vcc, exec, s[0:1]
	v_mov_b32_e32 v2, 0
	s_cbranch_vccnz .LBB0_8
; %bb.1:
	s_load_dwordx2 s[0:1], s[4:5], 0x10
	s_add_u32 s6, s2, 8
	s_addc_u32 s7, s3, 0
	v_mov_b32_e32 v1, 0
	v_mov_b32_e32 v2, 0
	s_waitcnt lgkmcnt(0)
	s_add_u32 s14, s0, 8
	s_addc_u32 s15, s1, 0
	s_mov_b64 s[16:17], 1
.LBB0_2:                                ; =>This Inner Loop Header: Depth=1
	s_load_dwordx2 s[18:19], s[14:15], 0x0
                                        ; implicit-def: $vgpr7_vgpr8
	s_waitcnt lgkmcnt(0)
	v_or_b32_e32 v4, s19, v6
	v_cmp_ne_u64_e32 vcc, 0, v[3:4]
	s_and_saveexec_b64 s[0:1], vcc
	s_xor_b64 s[20:21], exec, s[0:1]
	s_cbranch_execz .LBB0_4
; %bb.3:                                ;   in Loop: Header=BB0_2 Depth=1
	v_cvt_f32_u32_e32 v4, s18
	v_cvt_f32_u32_e32 v7, s19
	s_sub_u32 s0, 0, s18
	s_subb_u32 s1, 0, s19
	v_mac_f32_e32 v4, 0x4f800000, v7
	v_rcp_f32_e32 v4, v4
	v_mul_f32_e32 v4, 0x5f7ffffc, v4
	v_mul_f32_e32 v7, 0x2f800000, v4
	v_trunc_f32_e32 v7, v7
	v_mac_f32_e32 v4, 0xcf800000, v7
	v_cvt_u32_f32_e32 v7, v7
	v_cvt_u32_f32_e32 v4, v4
	v_mul_lo_u32 v8, s0, v7
	v_mul_hi_u32 v9, s0, v4
	v_mul_lo_u32 v11, s1, v4
	v_mul_lo_u32 v10, s0, v4
	v_add_u32_e32 v8, v9, v8
	v_add_u32_e32 v8, v8, v11
	v_mul_hi_u32 v9, v4, v10
	v_mul_lo_u32 v11, v4, v8
	v_mul_hi_u32 v13, v4, v8
	v_mul_hi_u32 v12, v7, v10
	v_mul_lo_u32 v10, v7, v10
	v_mul_hi_u32 v14, v7, v8
	v_add_co_u32_e32 v9, vcc, v9, v11
	v_addc_co_u32_e32 v11, vcc, 0, v13, vcc
	v_mul_lo_u32 v8, v7, v8
	v_add_co_u32_e32 v9, vcc, v9, v10
	v_addc_co_u32_e32 v9, vcc, v11, v12, vcc
	v_addc_co_u32_e32 v10, vcc, 0, v14, vcc
	v_add_co_u32_e32 v8, vcc, v9, v8
	v_addc_co_u32_e32 v9, vcc, 0, v10, vcc
	v_add_co_u32_e32 v4, vcc, v4, v8
	v_addc_co_u32_e32 v7, vcc, v7, v9, vcc
	v_mul_lo_u32 v8, s0, v7
	v_mul_hi_u32 v9, s0, v4
	v_mul_lo_u32 v10, s1, v4
	v_mul_lo_u32 v11, s0, v4
	v_add_u32_e32 v8, v9, v8
	v_add_u32_e32 v8, v8, v10
	v_mul_lo_u32 v12, v4, v8
	v_mul_hi_u32 v13, v4, v11
	v_mul_hi_u32 v14, v4, v8
	;; [unrolled: 1-line block ×3, first 2 shown]
	v_mul_lo_u32 v11, v7, v11
	v_mul_hi_u32 v9, v7, v8
	v_add_co_u32_e32 v12, vcc, v13, v12
	v_addc_co_u32_e32 v13, vcc, 0, v14, vcc
	v_mul_lo_u32 v8, v7, v8
	v_add_co_u32_e32 v11, vcc, v12, v11
	v_addc_co_u32_e32 v10, vcc, v13, v10, vcc
	v_addc_co_u32_e32 v9, vcc, 0, v9, vcc
	v_add_co_u32_e32 v8, vcc, v10, v8
	v_addc_co_u32_e32 v9, vcc, 0, v9, vcc
	v_add_co_u32_e32 v4, vcc, v4, v8
	v_addc_co_u32_e32 v9, vcc, v7, v9, vcc
	v_mad_u64_u32 v[7:8], s[0:1], v5, v9, 0
	v_mul_hi_u32 v10, v5, v4
	v_add_co_u32_e32 v11, vcc, v10, v7
	v_addc_co_u32_e32 v12, vcc, 0, v8, vcc
	v_mad_u64_u32 v[7:8], s[0:1], v6, v4, 0
	v_mad_u64_u32 v[9:10], s[0:1], v6, v9, 0
	v_add_co_u32_e32 v4, vcc, v11, v7
	v_addc_co_u32_e32 v4, vcc, v12, v8, vcc
	v_addc_co_u32_e32 v7, vcc, 0, v10, vcc
	v_add_co_u32_e32 v4, vcc, v4, v9
	v_addc_co_u32_e32 v9, vcc, 0, v7, vcc
	v_mul_lo_u32 v10, s19, v4
	v_mul_lo_u32 v11, s18, v9
	v_mad_u64_u32 v[7:8], s[0:1], s18, v4, 0
	v_add3_u32 v8, v8, v11, v10
	v_sub_u32_e32 v10, v6, v8
	v_mov_b32_e32 v11, s19
	v_sub_co_u32_e32 v7, vcc, v5, v7
	v_subb_co_u32_e64 v10, s[0:1], v10, v11, vcc
	v_subrev_co_u32_e64 v11, s[0:1], s18, v7
	v_subbrev_co_u32_e64 v10, s[0:1], 0, v10, s[0:1]
	v_cmp_le_u32_e64 s[0:1], s19, v10
	v_cndmask_b32_e64 v12, 0, -1, s[0:1]
	v_cmp_le_u32_e64 s[0:1], s18, v11
	v_cndmask_b32_e64 v11, 0, -1, s[0:1]
	v_cmp_eq_u32_e64 s[0:1], s19, v10
	v_cndmask_b32_e64 v10, v12, v11, s[0:1]
	v_add_co_u32_e64 v11, s[0:1], 2, v4
	v_addc_co_u32_e64 v12, s[0:1], 0, v9, s[0:1]
	v_add_co_u32_e64 v13, s[0:1], 1, v4
	v_addc_co_u32_e64 v14, s[0:1], 0, v9, s[0:1]
	v_subb_co_u32_e32 v8, vcc, v6, v8, vcc
	v_cmp_ne_u32_e64 s[0:1], 0, v10
	v_cmp_le_u32_e32 vcc, s19, v8
	v_cndmask_b32_e64 v10, v14, v12, s[0:1]
	v_cndmask_b32_e64 v12, 0, -1, vcc
	v_cmp_le_u32_e32 vcc, s18, v7
	v_cndmask_b32_e64 v7, 0, -1, vcc
	v_cmp_eq_u32_e32 vcc, s19, v8
	v_cndmask_b32_e32 v7, v12, v7, vcc
	v_cmp_ne_u32_e32 vcc, 0, v7
	v_cndmask_b32_e64 v7, v13, v11, s[0:1]
	v_cndmask_b32_e32 v8, v9, v10, vcc
	v_cndmask_b32_e32 v7, v4, v7, vcc
.LBB0_4:                                ;   in Loop: Header=BB0_2 Depth=1
	s_andn2_saveexec_b64 s[0:1], s[20:21]
	s_cbranch_execz .LBB0_6
; %bb.5:                                ;   in Loop: Header=BB0_2 Depth=1
	v_cvt_f32_u32_e32 v4, s18
	s_sub_i32 s20, 0, s18
	v_rcp_iflag_f32_e32 v4, v4
	v_mul_f32_e32 v4, 0x4f7ffffe, v4
	v_cvt_u32_f32_e32 v4, v4
	v_mul_lo_u32 v7, s20, v4
	v_mul_hi_u32 v7, v4, v7
	v_add_u32_e32 v4, v4, v7
	v_mul_hi_u32 v4, v5, v4
	v_mul_lo_u32 v7, v4, s18
	v_add_u32_e32 v8, 1, v4
	v_sub_u32_e32 v7, v5, v7
	v_subrev_u32_e32 v9, s18, v7
	v_cmp_le_u32_e32 vcc, s18, v7
	v_cndmask_b32_e32 v7, v7, v9, vcc
	v_cndmask_b32_e32 v4, v4, v8, vcc
	v_add_u32_e32 v8, 1, v4
	v_cmp_le_u32_e32 vcc, s18, v7
	v_cndmask_b32_e32 v7, v4, v8, vcc
	v_mov_b32_e32 v8, v3
.LBB0_6:                                ;   in Loop: Header=BB0_2 Depth=1
	s_or_b64 exec, exec, s[0:1]
	v_mul_lo_u32 v4, v8, s18
	v_mul_lo_u32 v11, v7, s19
	v_mad_u64_u32 v[9:10], s[0:1], v7, s18, 0
	s_load_dwordx2 s[0:1], s[6:7], 0x0
	s_add_u32 s16, s16, 1
	v_add3_u32 v4, v10, v11, v4
	v_sub_co_u32_e32 v5, vcc, v5, v9
	v_subb_co_u32_e32 v4, vcc, v6, v4, vcc
	s_waitcnt lgkmcnt(0)
	v_mul_lo_u32 v4, s0, v4
	v_mul_lo_u32 v6, s1, v5
	v_mad_u64_u32 v[1:2], s[0:1], s0, v5, v[1:2]
	s_addc_u32 s17, s17, 0
	s_add_u32 s6, s6, 8
	v_add3_u32 v2, v6, v2, v4
	v_mov_b32_e32 v4, s10
	v_mov_b32_e32 v5, s11
	s_addc_u32 s7, s7, 0
	v_cmp_ge_u64_e32 vcc, s[16:17], v[4:5]
	s_add_u32 s14, s14, 8
	s_addc_u32 s15, s15, 0
	s_cbranch_vccnz .LBB0_9
; %bb.7:                                ;   in Loop: Header=BB0_2 Depth=1
	v_mov_b32_e32 v5, v7
	v_mov_b32_e32 v6, v8
	s_branch .LBB0_2
.LBB0_8:
	v_mov_b32_e32 v8, v6
	v_mov_b32_e32 v7, v5
.LBB0_9:
	s_lshl_b64 s[0:1], s[10:11], 3
	s_add_u32 s0, s2, s0
	s_addc_u32 s1, s3, s1
	s_load_dwordx2 s[2:3], s[0:1], 0x0
	s_load_dwordx2 s[6:7], s[4:5], 0x20
                                        ; implicit-def: $vgpr10
                                        ; implicit-def: $vgpr16
                                        ; implicit-def: $vgpr32
                                        ; implicit-def: $vgpr30
                                        ; implicit-def: $vgpr38
                                        ; implicit-def: $vgpr34
                                        ; implicit-def: $vgpr40
                                        ; implicit-def: $vgpr36
                                        ; implicit-def: $vgpr44
                                        ; implicit-def: $vgpr42
                                        ; implicit-def: $vgpr12
                                        ; implicit-def: $vgpr14
                                        ; implicit-def: $vgpr24
                                        ; implicit-def: $vgpr22
                                        ; implicit-def: $vgpr28
                                        ; implicit-def: $vgpr20
                                        ; implicit-def: $vgpr26
                                        ; implicit-def: $vgpr18
	s_waitcnt lgkmcnt(0)
	v_mad_u64_u32 v[1:2], s[0:1], s2, v7, v[1:2]
	v_mul_lo_u32 v3, s2, v8
	v_mul_lo_u32 v4, s3, v7
	s_mov_b32 s0, 0x2d82d83
	v_mul_hi_u32 v5, v0, s0
	v_cmp_gt_u64_e64 s[0:1], s[6:7], v[7:8]
	v_add3_u32 v2, v4, v2, v3
	v_lshlrev_b64 v[6:7], 3, v[1:2]
	v_mul_u32_u24_e32 v3, 0x5a, v5
	v_sub_u32_e32 v4, v0, v3
                                        ; implicit-def: $vgpr1
                                        ; implicit-def: $vgpr3
	s_and_saveexec_b64 s[2:3], s[0:1]
	s_cbranch_execz .LBB0_13
; %bb.10:
	v_mov_b32_e32 v5, 0
	v_mov_b32_e32 v0, s13
	v_add_co_u32_e32 v2, vcc, s12, v6
	v_addc_co_u32_e32 v3, vcc, v0, v7, vcc
	v_lshlrev_b64 v[0:1], 3, v[4:5]
                                        ; implicit-def: $vgpr17
                                        ; implicit-def: $vgpr25
                                        ; implicit-def: $vgpr19
                                        ; implicit-def: $vgpr27
                                        ; implicit-def: $vgpr21
                                        ; implicit-def: $vgpr23
                                        ; implicit-def: $vgpr13
                                        ; implicit-def: $vgpr11
	v_add_co_u32_e32 v45, vcc, v2, v0
	v_addc_co_u32_e32 v46, vcc, v3, v1, vcc
	v_add_co_u32_e32 v0, vcc, 0x1000, v45
	v_addc_co_u32_e32 v1, vcc, 0, v46, vcc
	global_load_dwordx2 v[9:10], v[45:46], off
	global_load_dwordx2 v[15:16], v[45:46], off offset:1152
	global_load_dwordx2 v[31:32], v[45:46], off offset:2304
	;; [unrolled: 1-line block ×7, first 2 shown]
	v_or_b32_e32 v0, 0x480, v4
	v_mov_b32_e32 v1, v5
	v_lshlrev_b64 v[0:1], 3, v[0:1]
	v_add_co_u32_e32 v0, vcc, v2, v0
	v_addc_co_u32_e32 v1, vcc, v3, v1, vcc
	v_add_co_u32_e32 v2, vcc, 0x2000, v45
	v_addc_co_u32_e32 v3, vcc, 0, v46, vcc
	global_load_dwordx2 v[43:44], v[0:1], off
	global_load_dwordx2 v[41:42], v[2:3], off offset:2176
	v_cmp_gt_u32_e32 vcc, 54, v4
                                        ; implicit-def: $vgpr2
                                        ; implicit-def: $vgpr0
	s_and_saveexec_b64 s[4:5], vcc
	s_cbranch_execz .LBB0_12
; %bb.11:
	v_add_co_u32_e32 v47, vcc, 0x1000, v45
	v_addc_co_u32_e32 v48, vcc, 0, v46, vcc
	global_load_dwordx2 v[11:12], v[45:46], off offset:720
	global_load_dwordx2 v[0:1], v[45:46], off offset:1872
	;; [unrolled: 1-line block ×4, first 2 shown]
	v_add_co_u32_e32 v45, vcc, 0x2000, v45
	v_addc_co_u32_e32 v46, vcc, 0, v46, vcc
	global_load_dwordx2 v[23:24], v[47:48], off offset:1232
	global_load_dwordx2 v[17:18], v[47:48], off offset:2384
	;; [unrolled: 1-line block ×6, first 2 shown]
.LBB0_12:
	s_or_b64 exec, exec, s[4:5]
.LBB0_13:
	s_or_b64 exec, exec, s[2:3]
	s_waitcnt vmcnt(5)
	v_sub_f32_e32 v5, v31, v37
	s_waitcnt vmcnt(1)
	v_sub_f32_e32 v8, v43, v39
	v_add_f32_e32 v8, v5, v8
	v_add_f32_e32 v5, v37, v39
	v_fma_f32 v53, -0.5, v5, v9
	v_add_f32_e32 v5, v31, v43
	v_add_f32_e32 v48, v9, v31
	v_fmac_f32_e32 v9, -0.5, v5
	v_sub_f32_e32 v54, v38, v40
	v_mov_b32_e32 v55, v9
	v_sub_f32_e32 v5, v37, v31
	v_sub_f32_e32 v45, v39, v43
	v_fmac_f32_e32 v55, 0x3f737871, v54
	v_sub_f32_e32 v56, v32, v44
	v_fmac_f32_e32 v9, 0xbf737871, v54
	v_add_f32_e32 v5, v5, v45
	v_fmac_f32_e32 v55, 0xbf167918, v56
	v_fmac_f32_e32 v9, 0x3f167918, v56
	;; [unrolled: 1-line block ×4, first 2 shown]
	v_sub_f32_e32 v5, v29, v33
	s_waitcnt vmcnt(0)
	v_sub_f32_e32 v45, v41, v35
	v_add_f32_e32 v57, v5, v45
	v_add_f32_e32 v5, v33, v35
	;; [unrolled: 1-line block ×3, first 2 shown]
	v_fma_f32 v5, -0.5, v5, v15
	v_add_f32_e32 v49, v15, v29
	v_fmac_f32_e32 v15, -0.5, v45
	v_sub_f32_e32 v45, v33, v29
	v_sub_f32_e32 v46, v35, v41
	v_add_f32_e32 v46, v45, v46
	v_sub_f32_e32 v58, v34, v36
	v_mov_b32_e32 v45, v15
	v_fmac_f32_e32 v45, 0x3f737871, v58
	v_sub_f32_e32 v59, v30, v42
	v_fmac_f32_e32 v15, 0xbf737871, v58
	v_sub_f32_e32 v62, v29, v41
	v_add_f32_e32 v29, v48, v37
	v_fmac_f32_e32 v45, 0xbf167918, v59
	v_fmac_f32_e32 v15, 0x3f167918, v59
	v_add_f32_e32 v29, v29, v39
	v_fmac_f32_e32 v45, 0x3e9e377a, v46
	v_fmac_f32_e32 v15, 0x3e9e377a, v46
	v_sub_f32_e32 v46, v30, v34
	v_sub_f32_e32 v47, v42, v36
	v_add_f32_e32 v63, v29, v43
	v_add_f32_e32 v29, v49, v33
	;; [unrolled: 1-line block ×3, first 2 shown]
	v_sub_f32_e32 v46, v34, v30
	v_sub_f32_e32 v47, v36, v42
	v_add_f32_e32 v29, v29, v35
	v_add_f32_e32 v50, v46, v47
	;; [unrolled: 1-line block ×5, first 2 shown]
	v_fma_f32 v46, -0.5, v46, v16
	v_fma_f32 v29, -0.5, v29, v16
	v_sub_f32_e32 v61, v33, v35
	v_mov_b32_e32 v47, v46
	v_mov_b32_e32 v35, v29
	v_fmac_f32_e32 v47, 0xbf737871, v61
	v_fmac_f32_e32 v46, 0x3f737871, v61
	v_mov_b32_e32 v33, v5
	v_fmac_f32_e32 v35, 0x3f737871, v62
	v_fmac_f32_e32 v47, 0x3f167918, v62
	;; [unrolled: 1-line block ×3, first 2 shown]
	v_mov_b32_e32 v64, v53
	v_fmac_f32_e32 v33, 0xbf737871, v59
	v_fmac_f32_e32 v35, 0x3f167918, v61
	v_fmac_f32_e32 v29, 0xbf737871, v62
	v_fmac_f32_e32 v47, 0x3e9e377a, v50
	v_fmac_f32_e32 v46, 0x3e9e377a, v50
	v_fmac_f32_e32 v64, 0xbf737871, v56
	v_fmac_f32_e32 v33, 0xbf167918, v58
	v_fmac_f32_e32 v35, 0x3e9e377a, v60
	v_fmac_f32_e32 v53, 0x3f737871, v56
	v_fmac_f32_e32 v5, 0x3f737871, v59
	v_fmac_f32_e32 v29, 0xbf167918, v61
	v_fmac_f32_e32 v64, 0xbf167918, v54
	v_fmac_f32_e32 v33, 0x3e9e377a, v57
	v_mul_f32_e32 v65, 0xbf167918, v35
	v_mul_f32_e32 v66, 0xbf737871, v47
	;; [unrolled: 1-line block ×3, first 2 shown]
	v_fmac_f32_e32 v53, 0x3f167918, v54
	v_fmac_f32_e32 v5, 0x3f167918, v58
	;; [unrolled: 1-line block ×7, first 2 shown]
	v_mul_u32_u24_e32 v48, 10, v4
	v_fmac_f32_e32 v53, 0x3e9e377a, v8
	v_fmac_f32_e32 v5, 0x3e9e377a, v57
	v_mul_f32_e32 v8, 0xbf167918, v29
	v_add_f32_e32 v49, v63, v41
	v_add_f32_e32 v50, v64, v65
	;; [unrolled: 1-line block ×4, first 2 shown]
	v_lshl_add_u32 v48, v48, 2, 0
	v_fmac_f32_e32 v8, 0xbf4f1bbd, v5
	ds_write2_b64 v48, v[49:50], v[51:52] offset1:1
	v_sub_f32_e32 v49, v64, v65
	v_sub_f32_e32 v50, v55, v66
	;; [unrolled: 1-line block ×3, first 2 shown]
	v_add_f32_e32 v51, v53, v8
	ds_write2_b64 v48, v[51:52], v[49:50] offset0:2 offset1:3
	v_sub_f32_e32 v50, v53, v8
	v_sub_f32_e32 v49, v9, v67
	;; [unrolled: 1-line block ×4, first 2 shown]
	v_add_f32_e32 v56, v8, v9
	v_sub_f32_e32 v8, v23, v13
	v_sub_f32_e32 v9, v25, v27
	v_add_f32_e32 v57, v8, v9
	v_sub_f32_e32 v8, v2, v17
	v_sub_f32_e32 v9, v21, v19
	v_add_f32_e32 v8, v9, v8
	v_add_f32_e32 v9, v19, v17
	ds_write_b64 v48, v[49:50] offset:32
	v_fma_f32 v49, -0.5, v9, v0
	v_sub_f32_e32 v9, v3, v22
	v_mov_b32_e32 v41, v49
	v_fmac_f32_e32 v41, 0xbf737871, v9
	v_sub_f32_e32 v51, v18, v20
	v_fmac_f32_e32 v49, 0x3f737871, v9
	v_fmac_f32_e32 v41, 0xbf167918, v51
	v_fmac_f32_e32 v49, 0x3f167918, v51
	v_fmac_f32_e32 v41, 0x3e9e377a, v8
	v_fmac_f32_e32 v49, 0x3e9e377a, v8
	v_sub_f32_e32 v8, v17, v2
	v_sub_f32_e32 v50, v19, v21
	v_add_f32_e32 v8, v50, v8
	v_add_f32_e32 v50, v2, v21
	v_fma_f32 v50, -0.5, v50, v0
	v_mov_b32_e32 v53, v50
	v_fmac_f32_e32 v53, 0x3f737871, v51
	v_fmac_f32_e32 v50, 0xbf737871, v51
	;; [unrolled: 1-line block ×6, first 2 shown]
	v_sub_f32_e32 v8, v3, v18
	v_sub_f32_e32 v9, v22, v20
	v_add_f32_e32 v8, v9, v8
	v_add_f32_e32 v9, v20, v18
	v_fma_f32 v51, -0.5, v9, v1
	v_sub_f32_e32 v9, v2, v21
	v_mov_b32_e32 v54, v51
	v_fmac_f32_e32 v54, 0x3f737871, v9
	v_sub_f32_e32 v58, v17, v19
	v_fmac_f32_e32 v51, 0xbf737871, v9
	v_fmac_f32_e32 v54, 0x3f167918, v58
	;; [unrolled: 1-line block ×5, first 2 shown]
	v_sub_f32_e32 v8, v18, v3
	v_sub_f32_e32 v52, v20, v22
	v_add_f32_e32 v8, v52, v8
	v_add_f32_e32 v52, v3, v22
	v_fma_f32 v52, -0.5, v52, v1
	v_mov_b32_e32 v55, v52
	v_fmac_f32_e32 v55, 0xbf737871, v58
	v_fmac_f32_e32 v52, 0x3f737871, v58
	;; [unrolled: 1-line block ×6, first 2 shown]
	v_add_f32_e32 v8, v23, v25
	v_fma_f32 v62, -0.5, v8, v11
	v_add_f32_e32 v8, v13, v27
	v_fma_f32 v63, -0.5, v8, v11
	v_sub_f32_e32 v64, v14, v28
	v_mov_b32_e32 v58, v62
	v_sub_f32_e32 v65, v24, v26
	v_mov_b32_e32 v59, v63
	v_fmac_f32_e32 v58, 0xbf737871, v64
	v_fmac_f32_e32 v59, 0x3f737871, v65
	;; [unrolled: 1-line block ×4, first 2 shown]
	v_mul_f32_e32 v60, 0xbf167918, v54
	v_mul_f32_e32 v61, 0xbf737871, v55
	v_fmac_f32_e32 v58, 0x3e9e377a, v56
	v_fmac_f32_e32 v59, 0x3e9e377a, v57
	;; [unrolled: 1-line block ×4, first 2 shown]
	s_mov_b32 s5, 0x3f737871
	s_mov_b32 s4, 0x3f167918
	v_sub_f32_e32 v8, v58, v60
	v_sub_f32_e32 v9, v59, v61
	v_cmp_gt_u32_e32 vcc, 54, v4
	s_and_saveexec_b64 s[2:3], vcc
	s_cbranch_execz .LBB0_15
; %bb.14:
	v_mul_f32_e32 v66, 0x3f737871, v64
	v_mul_f32_e32 v67, 0x3f167918, v65
	;; [unrolled: 1-line block ×3, first 2 shown]
	v_add_f32_e32 v57, v66, v62
	v_mul_f32_e32 v56, 0x3e9e377a, v56
	v_mul_f32_e32 v65, 0x3f737871, v65
	v_add_f32_e32 v57, v67, v57
	v_add_f32_e32 v11, v11, v13
	;; [unrolled: 1-line block ×3, first 2 shown]
	v_mul_f32_e32 v64, 0x3f167918, v64
	v_add_f32_e32 v62, v56, v57
	v_sub_f32_e32 v56, v63, v65
	v_add_f32_e32 v11, v11, v23
	v_add_f32_e32 v0, v0, v17
	v_add_f32_e32 v56, v64, v56
	v_mul_f32_e32 v65, 0xbf737871, v52
	v_add_f32_e32 v11, v11, v25
	v_add_f32_e32 v0, v19, v0
	v_mul_f32_e32 v66, 0xbf167918, v51
	v_add_f32_e32 v64, v68, v56
	v_fmac_f32_e32 v65, 0xbe9e377a, v50
	v_add_f32_e32 v11, v27, v11
	v_add_f32_e32 v0, v21, v0
	v_fmac_f32_e32 v66, 0xbf4f1bbd, v49
	v_sub_f32_e32 v56, v64, v65
	v_sub_f32_e32 v63, v11, v0
	v_add_f32_e32 v65, v64, v65
	v_add_f32_e32 v64, v59, v61
	;; [unrolled: 1-line block ×4, first 2 shown]
	v_add_u32_e32 v0, 0xe10, v48
	v_sub_f32_e32 v57, v62, v66
	v_add_f32_e32 v62, v62, v66
	ds_write2_b64 v0, v[58:59], v[64:65] offset1:1
	v_add_u32_e32 v0, 0xe20, v48
	ds_write2_b64 v0, v[62:63], v[8:9] offset1:1
	ds_write_b64 v48, v[56:57] offset:3632
.LBB0_15:
	s_or_b64 exec, exec, s[2:3]
	v_add_f32_e32 v2, v38, v40
	v_fma_f32 v2, -0.5, v2, v10
	v_sub_f32_e32 v11, v31, v43
	v_mov_b32_e32 v17, v2
	v_fmac_f32_e32 v17, 0x3f737871, v11
	v_sub_f32_e32 v19, v37, v39
	v_sub_f32_e32 v21, v32, v38
	;; [unrolled: 1-line block ×3, first 2 shown]
	v_fmac_f32_e32 v2, 0xbf737871, v11
	v_fmac_f32_e32 v17, 0x3f167918, v19
	v_add_f32_e32 v21, v21, v31
	v_fmac_f32_e32 v2, 0xbf167918, v19
	v_fmac_f32_e32 v17, 0x3e9e377a, v21
	;; [unrolled: 1-line block ×3, first 2 shown]
	v_add_f32_e32 v21, v32, v44
	v_add_f32_e32 v0, v10, v32
	v_fmac_f32_e32 v10, -0.5, v21
	v_mov_b32_e32 v21, v10
	v_fmac_f32_e32 v21, 0xbf737871, v19
	v_fmac_f32_e32 v10, 0x3f737871, v19
	;; [unrolled: 1-line block ×3, first 2 shown]
	v_sub_f32_e32 v31, v38, v32
	v_sub_f32_e32 v32, v40, v44
	v_fmac_f32_e32 v10, 0xbf167918, v11
	v_add_f32_e32 v11, v16, v30
	v_add_f32_e32 v0, v0, v38
	;; [unrolled: 1-line block ×4, first 2 shown]
	v_mul_f32_e32 v30, 0x3e9e377a, v46
	v_mul_f32_e32 v29, 0x3f4f1bbd, v29
	v_add_f32_e32 v0, v0, v40
	v_fmac_f32_e32 v10, 0x3e9e377a, v31
	v_add_f32_e32 v11, v11, v36
	v_fma_f32 v15, v15, s5, -v30
	v_fma_f32 v5, v5, s4, -v29
	v_add_f32_e32 v0, v0, v44
	v_add_f32_e32 v11, v11, v42
	v_mul_f32_e32 v19, 0x3f737871, v45
	v_add_f32_e32 v62, v10, v15
	v_add_f32_e32 v63, v2, v5
	v_sub_f32_e32 v67, v10, v15
	v_sub_f32_e32 v68, v2, v5
	;; [unrolled: 1-line block ×4, first 2 shown]
	s_movk_i32 s2, 0xffdc
	v_fmac_f32_e32 v21, 0x3e9e377a, v31
	v_add_f32_e32 v59, v0, v11
	v_mul_f32_e32 v16, 0x3f4f1bbd, v35
	v_fmac_f32_e32 v19, 0x3e9e377a, v47
	v_sub_f32_e32 v64, v0, v11
	v_add_f32_e32 v0, v24, v26
	v_add_f32_e32 v57, v5, v10
	;; [unrolled: 1-line block ×3, first 2 shown]
	v_mad_i32_i24 v43, v4, s2, v48
	v_fmac_f32_e32 v16, 0x3f167918, v33
	v_add_f32_e32 v61, v21, v19
	v_sub_f32_e32 v66, v21, v19
	v_fma_f32 v2, -0.5, v0, v12
	v_sub_f32_e32 v19, v13, v27
	v_sub_f32_e32 v47, v23, v25
	v_fma_f32 v46, -0.5, v5, v12
	v_add_u32_e32 v23, 0x200, v43
	v_add_u32_e32 v13, 0x400, v43
	;; [unrolled: 1-line block ×7, first 2 shown]
	v_add_f32_e32 v60, v17, v16
	v_sub_f32_e32 v65, v17, v16
	v_mov_b32_e32 v0, v2
	v_mov_b32_e32 v17, v46
	v_mul_f32_e32 v56, 0x3f167918, v41
	s_waitcnt lgkmcnt(0)
	s_barrier
	ds_read2_b32 v[29:30], v43 offset1:90
	ds_read2_b32 v[41:42], v23 offset0:52 offset1:142
	ds_read2_b32 v[39:40], v13 offset0:104 offset1:194
	;; [unrolled: 1-line block ×7, first 2 shown]
	v_fmac_f32_e32 v0, 0x3f737871, v19
	v_fmac_f32_e32 v17, 0xbf737871, v47
	v_sub_f32_e32 v5, v24, v14
	v_sub_f32_e32 v10, v26, v28
	v_fmac_f32_e32 v0, 0x3f167918, v47
	v_fmac_f32_e32 v17, 0x3f167918, v19
	v_add_f32_e32 v58, v5, v10
	v_fmac_f32_e32 v56, 0x3f4f1bbd, v54
	v_mul_f32_e32 v54, 0x3e9e377a, v55
	v_fmac_f32_e32 v0, 0x3e9e377a, v57
	v_fmac_f32_e32 v17, 0x3e9e377a, v58
	;; [unrolled: 1-line block ×3, first 2 shown]
	v_sub_f32_e32 v10, v0, v56
	v_sub_f32_e32 v11, v17, v54
	v_add_u32_e32 v5, 0x5a, v4
	s_waitcnt lgkmcnt(0)
	s_barrier
	ds_write2_b64 v48, v[59:60], v[61:62] offset1:1
	ds_write2_b64 v48, v[63:64], v[65:66] offset0:2 offset1:3
	ds_write_b64 v48, v[67:68] offset:32
	s_and_saveexec_b64 s[2:3], vcc
	s_cbranch_execz .LBB0_17
; %bb.16:
	v_mul_f32_e32 v48, 0x3f737871, v19
	v_mul_f32_e32 v53, 0x3f167918, v47
	v_sub_f32_e32 v2, v2, v48
	v_mul_f32_e32 v55, 0x3e9e377a, v57
	v_mul_f32_e32 v47, 0x3f737871, v47
	v_sub_f32_e32 v2, v2, v53
	v_mul_f32_e32 v19, 0x3f167918, v19
	v_add_f32_e32 v12, v12, v14
	v_add_f32_e32 v14, v55, v2
	;; [unrolled: 1-line block ×3, first 2 shown]
	v_mul_f32_e32 v57, 0x3e9e377a, v58
	v_sub_f32_e32 v2, v2, v19
	v_add_f32_e32 v1, v1, v3
	v_add_f32_e32 v12, v12, v24
	;; [unrolled: 1-line block ×5, first 2 shown]
	v_mul_f32_e32 v0, 0xbe9e377a, v52
	v_add_f32_e32 v12, v12, v26
	v_add_f32_e32 v1, v20, v1
	v_fmac_f32_e32 v0, 0x3f737871, v50
	v_add_f32_e32 v12, v28, v12
	v_add_f32_e32 v3, v22, v1
	;; [unrolled: 1-line block ×3, first 2 shown]
	v_mul_f32_e32 v22, 0xbf4f1bbd, v51
	v_sub_f32_e32 v46, v24, v0
	v_mul_u32_u24_e32 v0, 10, v5
	v_add_f32_e32 v1, v12, v3
	v_add_f32_e32 v17, v17, v54
	v_fmac_f32_e32 v22, 0x3f167918, v49
	v_lshl_add_u32 v0, v0, 2, 0
	v_add_f32_e32 v19, v14, v22
	v_sub_f32_e32 v20, v12, v3
	v_sub_f32_e32 v47, v14, v22
	ds_write2_b64 v0, v[1:2], v[17:18] offset1:1
	ds_write2_b64 v0, v[19:20], v[10:11] offset0:2 offset1:3
	ds_write_b64 v0, v[46:47] offset:32
.LBB0_17:
	s_or_b64 exec, exec, s[2:3]
	s_movk_i32 s2, 0xcd
	v_mul_lo_u16_sdwa v0, v4, s2 dst_sel:DWORD dst_unused:UNUSED_PAD src0_sel:BYTE_0 src1_sel:DWORD
	v_lshrrev_b16_e32 v12, 11, v0
	v_mul_lo_u16_e32 v0, 10, v12
	v_sub_u16_e32 v24, v4, v0
	v_mov_b32_e32 v0, 15
	v_mul_u32_u24_sdwa v0, v24, v0 dst_sel:DWORD dst_unused:UNUSED_PAD src0_sel:BYTE_0 src1_sel:DWORD
	v_lshlrev_b32_e32 v14, 3, v0
	s_waitcnt lgkmcnt(0)
	s_barrier
	global_load_dwordx4 v[46:49], v14, s[8:9]
	global_load_dwordx4 v[50:53], v14, s[8:9] offset:16
	global_load_dwordx4 v[54:57], v14, s[8:9] offset:32
	;; [unrolled: 1-line block ×6, first 2 shown]
	global_load_dwordx2 v[70:71], v14, s[8:9] offset:112
	ds_read2_b32 v[17:18], v43 offset1:90
	ds_read2_b32 v[72:73], v23 offset0:52 offset1:142
	ds_read2_b32 v[74:75], v13 offset0:104 offset1:194
	ds_read2_b32 v[76:77], v27 offset0:28 offset1:118
	ds_read2_b32 v[19:20], v25 offset0:80 offset1:170
	ds_read2_b32 v[21:22], v21 offset0:132 offset1:222
	ds_read2_b32 v[78:79], v44 offset0:56 offset1:146
	ds_read2_b32 v[80:81], v45 offset0:108 offset1:198
	v_mul_u32_u24_e32 v12, 0xa0, v12
	v_or_b32_sdwa v12, v12, v24 dst_sel:DWORD dst_unused:UNUSED_PAD src0_sel:DWORD src1_sel:BYTE_0
	s_waitcnt vmcnt(0) lgkmcnt(0)
	s_barrier
	v_cmp_gt_u32_e64 s[2:3], 30, v4
	v_mul_f32_e32 v26, v18, v47
	v_mul_f32_e32 v14, v30, v47
	;; [unrolled: 1-line block ×6, first 2 shown]
	v_fmac_f32_e32 v26, v30, v46
	v_fma_f32 v30, v18, v46, -v14
	v_fmac_f32_e32 v28, v41, v48
	v_fma_f32 v41, v72, v48, -v45
	v_mul_f32_e32 v45, v75, v55
	v_mul_f32_e32 v18, v40, v55
	;; [unrolled: 1-line block ×6, first 2 shown]
	v_fmac_f32_e32 v47, v42, v50
	v_fma_f32 v49, v73, v50, -v49
	v_mul_f32_e32 v50, v19, v3
	v_fmac_f32_e32 v45, v40, v54
	v_fma_f32 v54, v75, v54, -v18
	v_mul_f32_e32 v18, v33, v65
	v_mul_f32_e32 v42, v77, v1
	v_mul_f32_e32 v1, v38, v1
	v_fmac_f32_e32 v51, v39, v52
	v_fma_f32 v14, v74, v52, -v53
	v_mul_f32_e32 v39, v16, v59
	v_mul_f32_e32 v52, v21, v61
	;; [unrolled: 1-line block ×6, first 2 shown]
	v_fmac_f32_e32 v46, v37, v56
	v_fma_f32 v37, v76, v56, -v48
	v_mul_f32_e32 v56, v80, v69
	v_mul_f32_e32 v63, v31, v69
	v_fmac_f32_e32 v50, v15, v2
	v_fma_f32 v18, v78, v64, -v18
	v_mul_f32_e32 v55, v20, v59
	v_mul_f32_e32 v48, v34, v67
	v_fmac_f32_e32 v42, v38, v0
	v_fma_f32 v0, v77, v0, -v1
	v_fma_f32 v1, v20, v58, -v39
	v_fmac_f32_e32 v52, v35, v60
	v_fma_f32 v20, v21, v60, -v53
	v_fmac_f32_e32 v61, v34, v66
	v_fmac_f32_e32 v56, v31, v68
	v_fma_f32 v31, v80, v68, -v63
	v_sub_f32_e32 v34, v29, v50
	v_sub_f32_e32 v18, v14, v18
	v_mul_f32_e32 v59, v78, v65
	v_mul_f32_e32 v65, v81, v71
	;; [unrolled: 1-line block ×3, first 2 shown]
	v_sub_f32_e32 v35, v28, v52
	v_sub_f32_e32 v20, v41, v20
	;; [unrolled: 1-line block ×3, first 2 shown]
	v_add_f32_e32 v52, v34, v18
	v_fmac_f32_e32 v55, v16, v58
	v_fmac_f32_e32 v57, v36, v62
	v_fma_f32 v21, v22, v62, -v40
	v_fmac_f32_e32 v59, v33, v64
	v_fma_f32 v33, v79, v66, -v48
	;; [unrolled: 2-line block ×3, first 2 shown]
	v_fma_f32 v22, v41, 2.0, -v20
	v_sub_f32_e32 v38, v46, v56
	v_fma_f32 v37, v37, 2.0, -v31
	v_fma_f32 v53, v34, 2.0, -v52
	v_add_f32_e32 v31, v35, v31
	v_sub_f32_e32 v16, v51, v59
	v_fma_f32 v29, v29, 2.0, -v34
	v_fma_f32 v28, v28, 2.0, -v35
	;; [unrolled: 1-line block ×3, first 2 shown]
	v_sub_f32_e32 v40, v26, v55
	v_sub_f32_e32 v1, v30, v1
	;; [unrolled: 1-line block ×8, first 2 shown]
	v_fma_f32 v35, v35, 2.0, -v31
	v_mov_b32_e32 v56, v53
	v_fma_f32 v36, v51, 2.0, -v16
	v_fma_f32 v26, v26, 2.0, -v40
	;; [unrolled: 1-line block ×5, first 2 shown]
	v_sub_f32_e32 v21, v49, v21
	v_fma_f32 v47, v47, 2.0, -v48
	v_fma_f32 v42, v42, 2.0, -v50
	;; [unrolled: 1-line block ×3, first 2 shown]
	v_sub_f32_e32 v55, v1, v41
	v_fmac_f32_e32 v56, 0xbf3504f3, v35
	v_mov_b32_e32 v58, v52
	v_sub_f32_e32 v51, v0, v32
	v_sub_f32_e32 v36, v29, v36
	;; [unrolled: 1-line block ×5, first 2 shown]
	v_fma_f32 v1, v1, 2.0, -v55
	v_sub_f32_e32 v41, v47, v42
	v_sub_f32_e32 v50, v21, v50
	v_fmac_f32_e32 v56, 0x3f3504f3, v20
	v_fmac_f32_e32 v58, 0x3f3504f3, v31
	v_fma_f32 v49, v49, 2.0, -v21
	v_fma_f32 v0, v0, 2.0, -v51
	;; [unrolled: 1-line block ×6, first 2 shown]
	v_add_f32_e32 v30, v40, v46
	v_fma_f32 v47, v47, 2.0, -v41
	v_add_f32_e32 v51, v48, v51
	v_fma_f32 v21, v21, 2.0, -v50
	v_mul_f32_e32 v42, 0x3f3504f3, v20
	v_fma_f32 v20, v53, 2.0, -v56
	v_add_f32_e32 v53, v36, v34
	v_mul_f32_e32 v46, 0x3f3504f3, v37
	v_fmac_f32_e32 v58, 0x3f3504f3, v37
	v_mov_b32_e32 v37, v1
	v_fma_f32 v40, v40, 2.0, -v30
	v_sub_f32_e32 v0, v49, v0
	v_fma_f32 v48, v48, 2.0, -v51
	v_sub_f32_e32 v28, v29, v28
	;; [unrolled: 2-line block ×3, first 2 shown]
	v_fmac_f32_e32 v37, 0xbf3504f3, v21
	v_fma_f32 v49, v49, 2.0, -v0
	v_fma_f32 v29, v29, 2.0, -v28
	v_mul_f32_e32 v39, 0x3f3504f3, v35
	v_fma_f32 v26, v26, 2.0, -v36
	v_mov_b32_e32 v35, v40
	v_fmac_f32_e32 v37, 0xbf3504f3, v48
	v_sub_f32_e32 v47, v33, v49
	v_fmac_f32_e32 v35, 0xbf3504f3, v48
	v_fma_f32 v49, v1, 2.0, -v37
	v_add_f32_e32 v59, v38, v0
	v_sub_f32_e32 v1, v29, v26
	v_fmac_f32_e32 v35, 0x3f3504f3, v21
	v_sub_f32_e32 v60, v54, v41
	v_fma_f32 v0, v38, 2.0, -v59
	v_fma_f32 v21, v29, 2.0, -v1
	v_mov_b32_e32 v29, v57
	v_fma_f32 v48, v40, 2.0, -v35
	v_fma_f32 v61, v54, 2.0, -v60
	v_mov_b32_e32 v40, v30
	v_mov_b32_e32 v41, v55
	v_fmac_f32_e32 v29, 0xbf3504f3, v0
	v_fmac_f32_e32 v40, 0x3f3504f3, v51
	;; [unrolled: 1-line block ×4, first 2 shown]
	v_mul_f32_e32 v45, 0x3f3504f3, v31
	v_fma_f32 v31, v52, 2.0, -v58
	v_fmac_f32_e32 v40, 0x3f3504f3, v50
	v_fmac_f32_e32 v41, 0xbf3504f3, v51
	v_mov_b32_e32 v26, v20
	v_mul_f32_e32 v52, 0x3f3504f3, v0
	v_fma_f32 v0, v57, 2.0, -v29
	v_mov_b32_e32 v57, v53
	v_fma_f32 v50, v30, 2.0, -v40
	v_fma_f32 v51, v55, 2.0, -v41
	v_fmac_f32_e32 v26, 0xbf6c835e, v48
	v_mov_b32_e32 v30, v31
	v_mov_b32_e32 v55, v56
	v_fmac_f32_e32 v57, 0x3f3504f3, v59
	v_mov_b32_e32 v38, v58
	v_fmac_f32_e32 v26, 0x3ec3ef15, v49
	v_fmac_f32_e32 v30, 0xbec3ef15, v50
	v_fmac_f32_e32 v55, 0x3ec3ef15, v35
	v_fmac_f32_e32 v57, 0x3f3504f3, v60
	v_fmac_f32_e32 v38, 0x3f6c835e, v40
	v_fma_f32 v20, v20, 2.0, -v26
	v_fmac_f32_e32 v30, 0x3f6c835e, v51
	v_add_f32_e32 v54, v28, v47
	v_fmac_f32_e32 v55, 0x3f6c835e, v37
	v_fma_f32 v62, v53, 2.0, -v57
	v_fmac_f32_e32 v38, 0x3ec3ef15, v41
	v_lshl_add_u32 v53, v12, 2, 0
	v_fma_f32 v31, v31, 2.0, -v30
	v_fma_f32 v28, v28, 2.0, -v54
	v_fma_f32 v56, v56, 2.0, -v55
	v_fma_f32 v58, v58, 2.0, -v38
	ds_write2_b32 v53, v21, v20 offset1:10
	ds_write2_b32 v53, v0, v31 offset0:20 offset1:30
	ds_write2_b32 v53, v28, v56 offset0:40 offset1:50
	;; [unrolled: 1-line block ×7, first 2 shown]
	v_add_u32_e32 v54, 0xe00, v43
	s_waitcnt lgkmcnt(0)
	s_barrier
	ds_read2_b32 v[20:21], v43 offset1:90
	ds_read2_b32 v[12:13], v13 offset0:104 offset1:224
	ds_read2_b32 v[28:29], v54 offset0:64 offset1:154
	;; [unrolled: 1-line block ×6, first 2 shown]
	ds_read_b32 v44, v43 offset:5280
	v_mul_f32_e32 v56, 0x3f3504f3, v61
	v_mul_f32_e32 v23, 0x3f3504f3, v59
	;; [unrolled: 1-line block ×3, first 2 shown]
	s_and_saveexec_b64 s[4:5], s[2:3]
	s_cbranch_execz .LBB0_19
; %bb.18:
	ds_read_b32 v38, v43 offset:1800
	ds_read_b32 v8, v43 offset:3720
	;; [unrolled: 1-line block ×3, first 2 shown]
.LBB0_19:
	s_or_b64 exec, exec, s[4:5]
	v_mul_f32_e32 v3, v15, v3
	v_fma_f32 v2, v19, v2, -v3
	v_sub_f32_e32 v2, v17, v2
	v_sub_f32_e32 v15, v2, v16
	v_fma_f32 v3, v17, 2.0, -v2
	v_fma_f32 v2, v2, 2.0, -v15
	;; [unrolled: 1-line block ×3, first 2 shown]
	v_sub_f32_e32 v17, v2, v42
	v_sub_f32_e32 v14, v3, v14
	;; [unrolled: 1-line block ×3, first 2 shown]
	v_add_f32_e32 v19, v15, v46
	v_fma_f32 v3, v3, 2.0, -v14
	v_fma_f32 v16, v22, 2.0, -v34
	;; [unrolled: 1-line block ×3, first 2 shown]
	v_sub_f32_e32 v19, v19, v45
	v_sub_f32_e32 v16, v3, v16
	;; [unrolled: 1-line block ×3, first 2 shown]
	v_fma_f32 v15, v15, 2.0, -v19
	v_mov_b32_e32 v32, v2
	v_mov_b32_e32 v42, v17
	v_fma_f32 v3, v3, 2.0, -v16
	v_fma_f32 v14, v14, 2.0, -v18
	v_fma_f32 v22, v33, 2.0, -v47
	v_fmac_f32_e32 v32, 0xbf6c835e, v49
	v_mov_b32_e32 v34, v15
	v_fmac_f32_e32 v42, 0x3ec3ef15, v37
	v_mov_b32_e32 v39, v19
	v_sub_f32_e32 v22, v3, v22
	v_fmac_f32_e32 v32, 0xbec3ef15, v48
	v_sub_f32_e32 v33, v14, v56
	v_fmac_f32_e32 v34, 0xbec3ef15, v51
	v_fmac_f32_e32 v42, 0xbf6c835e, v35
	v_add_f32_e32 v35, v18, v55
	v_fmac_f32_e32 v39, 0x3f6c835e, v41
	v_fma_f32 v3, v3, 2.0, -v22
	v_fma_f32 v2, v2, 2.0, -v32
	v_sub_f32_e32 v33, v33, v52
	v_fmac_f32_e32 v34, 0xbf6c835e, v50
	v_sub_f32_e32 v36, v16, v36
	v_sub_f32_e32 v23, v35, v23
	v_fmac_f32_e32 v39, 0xbec3ef15, v40
	v_fma_f32 v14, v14, 2.0, -v33
	v_fma_f32 v15, v15, 2.0, -v34
	;; [unrolled: 1-line block ×6, first 2 shown]
	s_waitcnt lgkmcnt(0)
	s_barrier
	ds_write2_b32 v53, v3, v2 offset1:10
	ds_write2_b32 v53, v14, v15 offset0:20 offset1:30
	ds_write2_b32 v53, v16, v17 offset0:40 offset1:50
	;; [unrolled: 1-line block ×7, first 2 shown]
	v_add_u32_e32 v2, 0x400, v43
	s_waitcnt lgkmcnt(0)
	s_barrier
	ds_read2_b32 v[18:19], v43 offset1:90
	ds_read2_b32 v[16:17], v2 offset0:104 offset1:224
	ds_read2_b32 v[14:15], v54 offset0:64 offset1:154
	v_add_u32_e32 v2, 0x800, v43
	ds_read2_b32 v[36:37], v2 offset0:58 offset1:148
	v_add_u32_e32 v2, 0x200, v43
	;; [unrolled: 2-line block ×4, first 2 shown]
	ds_read2_b32 v[32:33], v2 offset0:110 offset1:200
	ds_read_b32 v46, v43 offset:5280
	s_and_saveexec_b64 s[4:5], s[2:3]
	s_cbranch_execz .LBB0_21
; %bb.20:
	ds_read_b32 v39, v43 offset:1800
	ds_read_b32 v10, v43 offset:3720
	;; [unrolled: 1-line block ×3, first 2 shown]
.LBB0_21:
	s_or_b64 exec, exec, s[4:5]
	v_lshlrev_b32_e32 v47, 1, v4
	v_mov_b32_e32 v48, 0
	v_lshlrev_b64 v[2:3], 3, v[47:48]
	v_mov_b32_e32 v42, s9
	v_add_co_u32_e32 v2, vcc, s8, v2
	v_addc_co_u32_e32 v3, vcc, v42, v3, vcc
	s_movk_i32 s4, 0x46
	v_add_u32_e32 v45, 0xffffffba, v4
	v_cmp_gt_u32_e32 vcc, s4, v4
	v_add_u32_e32 v47, 40, v47
	v_cndmask_b32_e32 v77, v45, v5, vcc
	v_mov_b32_e32 v54, v48
	v_lshlrev_b64 v[47:48], 3, v[47:48]
	v_lshlrev_b32_e32 v53, 1, v77
	v_lshlrev_b64 v[53:54], 3, v[53:54]
	v_add_co_u32_e32 v47, vcc, s8, v47
	v_addc_co_u32_e32 v48, vcc, v42, v48, vcc
	v_add_u32_e32 v41, 0x10e, v4
	global_load_dwordx4 v[57:60], v[47:48], off offset:1200
	v_add_co_u32_e32 v47, vcc, s8, v53
	s_mov_b32 s4, 0xcccd
	v_addc_co_u32_e32 v48, vcc, v42, v54, vcc
	v_mul_u32_u24_sdwa v42, v41, s4 dst_sel:DWORD dst_unused:UNUSED_PAD src0_sel:WORD_0 src1_sel:DWORD
	v_lshrrev_b32_e32 v78, 23, v42
	v_mul_lo_u16_e32 v42, 0xa0, v78
	v_sub_u16_e32 v79, v41, v42
	v_add_u32_e32 v40, 0x168, v4
	v_lshlrev_b32_e32 v42, 4, v79
	global_load_dwordx4 v[49:52], v[2:3], off offset:1200
	global_load_dwordx4 v[65:68], v42, s[8:9] offset:1200
	v_mul_u32_u24_sdwa v42, v40, s4 dst_sel:DWORD dst_unused:UNUSED_PAD src0_sel:WORD_0 src1_sel:DWORD
	v_lshrrev_b32_e32 v42, 23, v42
	v_mul_lo_u16_e32 v42, 0xa0, v42
	v_sub_u16_e32 v80, v40, v42
	v_lshlrev_b32_e32 v42, 4, v80
	global_load_dwordx4 v[61:64], v[47:48], off offset:1200
	global_load_dwordx4 v[69:72], v42, s[8:9] offset:1200
	v_add_u32_e32 v42, 0x1c2, v4
	v_mul_u32_u24_sdwa v45, v42, s4 dst_sel:DWORD dst_unused:UNUSED_PAD src0_sel:WORD_0 src1_sel:DWORD
	v_lshrrev_b32_e32 v45, 23, v45
	v_mul_lo_u16_e32 v45, 0xa0, v45
	v_sub_u16_e32 v81, v42, v45
	v_lshlrev_b32_e32 v45, 4, v81
	global_load_dwordx4 v[73:76], v45, s[8:9] offset:1200
	s_movk_i32 s4, 0x45
	s_waitcnt vmcnt(0) lgkmcnt(0)
	s_barrier
	v_cmp_lt_u32_e32 vcc, s4, v4
	v_mul_f32_e32 v48, v17, v50
	v_mul_f32_e32 v45, v13, v50
	;; [unrolled: 1-line block ×4, first 2 shown]
	v_fmac_f32_e32 v50, v28, v51
	v_fma_f32 v56, v14, v51, -v47
	v_fmac_f32_e32 v48, v13, v49
	v_mul_f32_e32 v51, v36, v62
	v_mul_f32_e32 v13, v31, v58
	;; [unrolled: 1-line block ×3, first 2 shown]
	v_fmac_f32_e32 v51, v30, v61
	v_fma_f32 v54, v17, v49, -v45
	v_mul_f32_e32 v45, v37, v58
	v_mul_f32_e32 v14, v26, v60
	v_fma_f32 v49, v37, v57, -v13
	v_mul_f32_e32 v30, v10, v74
	v_mul_f32_e32 v13, v24, v66
	v_fmac_f32_e32 v30, v8, v73
	v_mul_f32_e32 v8, v8, v74
	v_mul_f32_e32 v47, v34, v60
	v_fmac_f32_e32 v45, v31, v57
	v_fma_f32 v52, v34, v59, -v14
	v_mul_f32_e32 v34, v32, v66
	v_fma_f32 v57, v36, v61, -v28
	v_fma_f32 v36, v32, v65, -v13
	;; [unrolled: 1-line block ×3, first 2 shown]
	v_mul_f32_e32 v10, v11, v76
	v_mul_f32_e32 v53, v15, v64
	v_fmac_f32_e32 v10, v9, v75
	v_mul_f32_e32 v8, v9, v76
	v_add_f32_e32 v9, v48, v50
	v_mul_f32_e32 v55, v29, v64
	v_mul_f32_e32 v14, v27, v68
	v_fmac_f32_e32 v53, v29, v63
	v_mul_f32_e32 v13, v44, v72
	v_fma_f32 v9, -0.5, v9, v20
	v_fmac_f32_e32 v47, v26, v59
	v_mul_f32_e32 v37, v35, v68
	v_fma_f32 v58, v15, v63, -v55
	v_fma_f32 v55, v35, v67, -v14
	;; [unrolled: 1-line block ×3, first 2 shown]
	v_sub_f32_e32 v13, v54, v56
	v_mov_b32_e32 v14, v9
	v_add_f32_e32 v15, v51, v53
	v_fmac_f32_e32 v34, v24, v65
	v_fmac_f32_e32 v14, 0xbf5db3d7, v13
	;; [unrolled: 1-line block ×3, first 2 shown]
	v_add_f32_e32 v13, v21, v51
	v_fmac_f32_e32 v21, -0.5, v15
	v_add_f32_e32 v24, v45, v47
	v_mul_f32_e32 v17, v33, v70
	v_fma_f32 v11, v11, v75, -v8
	v_add_f32_e32 v8, v20, v48
	v_sub_f32_e32 v15, v57, v58
	v_mov_b32_e32 v20, v21
	v_fma_f32 v24, -0.5, v24, v0
	v_mul_f32_e32 v26, v25, v70
	v_fmac_f32_e32 v17, v25, v69
	v_fmac_f32_e32 v20, 0xbf5db3d7, v15
	;; [unrolled: 1-line block ×3, first 2 shown]
	v_add_f32_e32 v15, v0, v45
	v_sub_f32_e32 v0, v49, v52
	v_mov_b32_e32 v25, v24
	v_fmac_f32_e32 v37, v27, v67
	v_fmac_f32_e32 v25, 0xbf5db3d7, v0
	;; [unrolled: 1-line block ×3, first 2 shown]
	v_add_f32_e32 v0, v1, v34
	v_fma_f32 v33, v33, v69, -v26
	v_add_f32_e32 v26, v0, v37
	v_add_f32_e32 v0, v34, v37
	v_fmac_f32_e32 v1, -0.5, v0
	v_mul_f32_e32 v31, v46, v72
	v_sub_f32_e32 v0, v36, v55
	v_mov_b32_e32 v27, v1
	v_fmac_f32_e32 v31, v44, v71
	v_add_f32_e32 v8, v8, v50
	v_fmac_f32_e32 v27, 0xbf5db3d7, v0
	v_fmac_f32_e32 v1, 0x3f5db3d7, v0
	v_add_f32_e32 v0, v12, v17
	v_add_f32_e32 v28, v0, v31
	v_add_f32_e32 v0, v17, v31
	ds_write2_b32 v43, v8, v14 offset1:160
	ds_write_b32 v43, v9 offset:1280
	v_mov_b32_e32 v8, 0x780
	v_fmac_f32_e32 v12, -0.5, v0
	v_cndmask_b32_e32 v8, 0, v8, vcc
	v_lshlrev_b32_e32 v9, 2, v77
	v_lshl_add_u32 v61, v4, 2, 0
	v_add_f32_e32 v13, v13, v53
	v_add_f32_e32 v15, v15, v47
	v_sub_f32_e32 v0, v33, v35
	v_mov_b32_e32 v29, v12
	v_add_f32_e32 v44, v30, v10
	v_add3_u32 v60, 0, v8, v9
	v_add_u32_e32 v8, 0x700, v61
	v_fmac_f32_e32 v29, 0xbf5db3d7, v0
	v_fmac_f32_e32 v12, 0x3f5db3d7, v0
	v_add_f32_e32 v0, v38, v30
	v_fmac_f32_e32 v38, -0.5, v44
	ds_write2_b32 v60, v13, v20 offset1:160
	ds_write_b32 v60, v21 offset:1280
	ds_write2_b32 v8, v15, v25 offset0:52 offset1:212
	ds_write_b32 v61, v24 offset:3280
	v_mul_u32_u24_e32 v8, 0x780, v78
	v_lshlrev_b32_e32 v9, 2, v79
	v_sub_f32_e32 v46, v32, v11
	v_mov_b32_e32 v44, v38
	v_add3_u32 v62, 0, v8, v9
	v_lshl_add_u32 v63, v80, 2, 0
	v_add_f32_e32 v0, v0, v10
	v_fmac_f32_e32 v44, 0xbf5db3d7, v46
	v_fmac_f32_e32 v38, 0x3f5db3d7, v46
	ds_write2_b32 v62, v26, v27 offset1:160
	ds_write_b32 v62, v1 offset:1280
	v_add_u32_e32 v1, 0xe00, v63
	v_lshl_add_u32 v59, v81, 2, 0
	ds_write2_b32 v1, v28, v29 offset0:64 offset1:224
	ds_write_b32 v63, v12 offset:5120
	s_and_saveexec_b64 s[4:5], s[2:3]
	s_cbranch_execz .LBB0_23
; %bb.22:
	v_add_u32_e32 v1, 0xe00, v59
	ds_write2_b32 v1, v0, v44 offset0:64 offset1:224
	ds_write_b32 v59, v38 offset:5120
.LBB0_23:
	s_or_b64 exec, exec, s[4:5]
	v_add_u32_e32 v1, 0x400, v43
	s_waitcnt lgkmcnt(0)
	s_barrier
	ds_read2_b32 v[14:15], v1 offset0:104 offset1:224
	v_add_u32_e32 v1, 0xe00, v43
	ds_read2_b32 v[12:13], v1 offset0:64 offset1:154
	v_add_u32_e32 v1, 0x800, v43
	;; [unrolled: 2-line block ×5, first 2 shown]
	ds_read2_b32 v[8:9], v43 offset1:90
	ds_read2_b32 v[28:29], v1 offset0:110 offset1:200
	ds_read_b32 v46, v43 offset:5280
	s_and_saveexec_b64 s[4:5], s[2:3]
	s_cbranch_execz .LBB0_25
; %bb.24:
	ds_read_b32 v0, v43 offset:1800
	ds_read_b32 v44, v43 offset:3720
	;; [unrolled: 1-line block ×3, first 2 shown]
.LBB0_25:
	s_or_b64 exec, exec, s[4:5]
	v_add_f32_e32 v1, v18, v54
	v_add_f32_e32 v64, v1, v56
	;; [unrolled: 1-line block ×3, first 2 shown]
	v_fma_f32 v18, -0.5, v1, v18
	v_sub_f32_e32 v1, v48, v50
	v_mov_b32_e32 v48, v18
	v_fmac_f32_e32 v48, 0x3f5db3d7, v1
	v_fmac_f32_e32 v18, 0xbf5db3d7, v1
	v_add_f32_e32 v1, v19, v57
	v_add_f32_e32 v50, v1, v58
	;; [unrolled: 1-line block ×3, first 2 shown]
	v_fmac_f32_e32 v19, -0.5, v1
	v_sub_f32_e32 v1, v51, v53
	v_mov_b32_e32 v51, v19
	v_fmac_f32_e32 v51, 0x3f5db3d7, v1
	v_fmac_f32_e32 v19, 0xbf5db3d7, v1
	v_add_f32_e32 v1, v22, v49
	v_add_f32_e32 v53, v1, v52
	;; [unrolled: 1-line block ×3, first 2 shown]
	v_fma_f32 v22, -0.5, v1, v22
	v_sub_f32_e32 v1, v45, v47
	v_mov_b32_e32 v47, v22
	v_fmac_f32_e32 v47, 0x3f5db3d7, v1
	v_fmac_f32_e32 v22, 0xbf5db3d7, v1
	v_add_f32_e32 v1, v23, v36
	v_add_f32_e32 v49, v1, v55
	v_add_f32_e32 v1, v36, v55
	v_fmac_f32_e32 v23, -0.5, v1
	v_sub_f32_e32 v1, v34, v37
	v_mov_b32_e32 v34, v23
	v_fmac_f32_e32 v34, 0x3f5db3d7, v1
	v_fmac_f32_e32 v23, 0xbf5db3d7, v1
	v_add_f32_e32 v1, v16, v33
	v_add_f32_e32 v36, v1, v35
	v_add_f32_e32 v1, v33, v35
	v_fmac_f32_e32 v16, -0.5, v1
	;; [unrolled: 8-line block ×3, first 2 shown]
	v_sub_f32_e32 v10, v30, v10
	v_mov_b32_e32 v45, v39
	v_fmac_f32_e32 v45, 0x3f5db3d7, v10
	v_fmac_f32_e32 v39, 0xbf5db3d7, v10
	v_add_u32_e32 v10, 0x700, v61
	s_waitcnt lgkmcnt(0)
	s_barrier
	ds_write2_b32 v43, v64, v48 offset1:160
	ds_write_b32 v43, v18 offset:1280
	ds_write2_b32 v60, v50, v51 offset1:160
	ds_write_b32 v60, v19 offset:1280
	ds_write2_b32 v10, v53, v47 offset0:52 offset1:212
	ds_write_b32 v61, v22 offset:3280
	ds_write2_b32 v62, v49, v34 offset1:160
	ds_write_b32 v62, v23 offset:1280
	v_add_u32_e32 v10, 0xe00, v63
	ds_write2_b32 v10, v36, v17 offset0:64 offset1:224
	ds_write_b32 v63, v16 offset:5120
	s_and_saveexec_b64 s[4:5], s[2:3]
	s_cbranch_execz .LBB0_27
; %bb.26:
	v_add_u32_e32 v10, 0xe00, v59
	ds_write2_b32 v10, v1, v45 offset0:64 offset1:224
	ds_write_b32 v59, v39 offset:5120
.LBB0_27:
	s_or_b64 exec, exec, s[4:5]
	v_add_u32_e32 v10, 0x400, v43
	s_waitcnt lgkmcnt(0)
	s_barrier
	ds_read2_b32 v[22:23], v10 offset0:104 offset1:224
	v_add_u32_e32 v10, 0xe00, v43
	ds_read2_b32 v[18:19], v10 offset0:64 offset1:154
	v_add_u32_e32 v10, 0x800, v43
	ds_read2_b32 v[30:31], v10 offset0:58 offset1:148
	v_add_u32_e32 v10, 0x200, v43
	ds_read2_b32 v[32:33], v10 offset0:52 offset1:142
	v_add_u32_e32 v10, 0x1000, v43
	ds_read2_b32 v[34:35], v10 offset0:116 offset1:206
	v_add_u32_e32 v10, 0xa00, v43
	ds_read2_b32 v[16:17], v43 offset1:90
	ds_read2_b32 v[36:37], v10 offset0:110 offset1:200
	ds_read_b32 v47, v43 offset:5280
	s_and_saveexec_b64 s[4:5], s[2:3]
	s_cbranch_execz .LBB0_29
; %bb.28:
	ds_read_b32 v1, v43 offset:1800
	ds_read_b32 v45, v43 offset:3720
	ds_read_b32 v39, v43 offset:5640
.LBB0_29:
	s_or_b64 exec, exec, s[4:5]
	s_and_saveexec_b64 s[4:5], s[0:1]
	s_cbranch_execz .LBB0_32
; %bb.30:
	v_lshlrev_b32_e32 v10, 1, v40
	v_mov_b32_e32 v11, 0
	v_lshlrev_b64 v[48:49], 3, v[10:11]
	v_lshlrev_b32_e32 v10, 1, v41
	v_mov_b32_e32 v43, s9
	v_add_co_u32_e32 v48, vcc, s8, v48
	v_lshlrev_b64 v[52:53], 3, v[10:11]
	v_add_u32_e32 v70, 0xb4, v4
	v_addc_co_u32_e32 v49, vcc, v43, v49, vcc
	v_lshlrev_b32_e32 v10, 1, v70
	v_add_co_u32_e32 v52, vcc, s8, v52
	v_lshlrev_b64 v[56:57], 3, v[10:11]
	v_addc_co_u32_e32 v53, vcc, v43, v53, vcc
	global_load_dwordx4 v[48:51], v[48:49], off offset:3760
	v_add_co_u32_e32 v56, vcc, s8, v56
	global_load_dwordx4 v[52:55], v[52:53], off offset:3760
	v_addc_co_u32_e32 v57, vcc, v43, v57, vcc
	global_load_dwordx4 v[56:59], v[56:57], off offset:3760
	v_lshlrev_b32_e32 v10, 1, v5
	v_lshlrev_b64 v[60:61], 3, v[10:11]
	s_movk_i32 s0, 0x1000
	v_add_co_u32_e32 v68, vcc, s8, v60
	v_addc_co_u32_e32 v69, vcc, v43, v61, vcc
	global_load_dwordx4 v[60:63], v[68:69], off offset:3760
	global_load_dwordx4 v[64:67], v[2:3], off offset:3760
	v_add_co_u32_e32 v6, vcc, s12, v6
	s_mov_b32 s1, 0x88888889
	s_movk_i32 s4, 0x5a0
	s_waitcnt vmcnt(4)
	v_mul_f32_e32 v2, v29, v49
	v_mul_f32_e32 v3, v46, v51
	s_waitcnt lgkmcnt(1)
	v_mul_f32_e32 v5, v37, v49
	s_waitcnt lgkmcnt(0)
	v_mul_f32_e32 v10, v47, v51
	v_fma_f32 v2, v37, v48, -v2
	v_fma_f32 v3, v47, v50, -v3
	v_fmac_f32_e32 v5, v29, v48
	v_fmac_f32_e32 v10, v46, v50
	s_waitcnt vmcnt(3)
	v_mul_f32_e32 v29, v28, v53
	v_mul_f32_e32 v37, v27, v55
	;; [unrolled: 1-line block ×4, first 2 shown]
	v_add_f32_e32 v47, v2, v3
	v_sub_f32_e32 v48, v5, v10
	v_add_f32_e32 v49, v5, v10
	v_sub_f32_e32 v50, v2, v3
	v_add_f32_e32 v2, v22, v2
	v_add_f32_e32 v5, v14, v5
	v_fma_f32 v29, v36, v52, -v29
	v_fma_f32 v37, v35, v54, -v37
	v_fmac_f32_e32 v43, v28, v52
	v_fmac_f32_e32 v46, v27, v54
	s_waitcnt vmcnt(2)
	v_mul_f32_e32 v51, v21, v57
	v_mul_f32_e32 v52, v26, v59
	;; [unrolled: 1-line block ×4, first 2 shown]
	v_fma_f32 v27, -0.5, v49, v14
	v_add_f32_e32 v36, v2, v3
	v_add_f32_e32 v35, v5, v10
	;; [unrolled: 1-line block ×3, first 2 shown]
	v_sub_f32_e32 v3, v43, v46
	v_add_f32_e32 v5, v43, v46
	v_sub_f32_e32 v10, v29, v37
	v_add_f32_e32 v14, v33, v29
	v_add_f32_e32 v29, v25, v43
	v_fma_f32 v31, v31, v56, -v51
	v_fma_f32 v43, v34, v58, -v52
	v_fma_f32 v28, -0.5, v47, v22
	v_fmac_f32_e32 v53, v21, v56
	v_fmac_f32_e32 v54, v26, v58
	v_fma_f32 v26, -0.5, v2, v33
	v_add_f32_e32 v2, v31, v43
	v_mov_b32_e32 v22, v28
	v_fma_f32 v49, -0.5, v2, v32
	v_add_f32_e32 v2, v53, v54
	v_mov_b32_e32 v21, v27
	v_fmac_f32_e32 v28, 0x3f5db3d7, v48
	v_fmac_f32_e32 v22, 0xbf5db3d7, v48
	v_fma_f32 v48, -0.5, v2, v24
	v_fmac_f32_e32 v27, 0xbf5db3d7, v50
	v_fmac_f32_e32 v21, 0x3f5db3d7, v50
	v_sub_f32_e32 v2, v31, v43
	v_mov_b32_e32 v50, v48
	v_fmac_f32_e32 v50, 0x3f5db3d7, v2
	v_fmac_f32_e32 v48, 0xbf5db3d7, v2
	v_add_f32_e32 v2, v32, v31
	v_mov_b32_e32 v47, v26
	v_add_f32_e32 v32, v2, v43
	v_add_f32_e32 v2, v24, v53
	v_fmac_f32_e32 v26, 0x3f5db3d7, v3
	v_fmac_f32_e32 v47, 0xbf5db3d7, v3
	v_add_f32_e32 v31, v2, v54
	s_waitcnt vmcnt(1)
	v_mul_f32_e32 v2, v20, v61
	v_mul_f32_e32 v3, v13, v63
	v_fma_f32 v25, -0.5, v5, v25
	v_sub_f32_e32 v5, v53, v54
	v_mov_b32_e32 v51, v49
	v_fma_f32 v2, v30, v60, -v2
	v_fma_f32 v3, v19, v62, -v3
	v_fmac_f32_e32 v51, 0xbf5db3d7, v5
	v_fmac_f32_e32 v49, 0x3f5db3d7, v5
	v_add_f32_e32 v5, v2, v3
	v_add_f32_e32 v34, v14, v37
	v_fma_f32 v14, -0.5, v5, v17
	v_mul_f32_e32 v5, v30, v61
	v_mul_f32_e32 v24, v19, v63
	v_add_f32_e32 v33, v29, v46
	v_mov_b32_e32 v46, v25
	v_fmac_f32_e32 v5, v20, v60
	v_fmac_f32_e32 v24, v13, v62
	;; [unrolled: 1-line block ×4, first 2 shown]
	v_sub_f32_e32 v10, v5, v24
	v_mov_b32_e32 v20, v14
	v_sub_f32_e32 v29, v2, v3
	v_add_f32_e32 v2, v17, v2
	v_fmac_f32_e32 v20, 0xbf5db3d7, v10
	v_add_f32_e32 v13, v5, v24
	v_fmac_f32_e32 v14, 0x3f5db3d7, v10
	v_add_f32_e32 v10, v2, v3
	v_add_f32_e32 v2, v9, v5
	v_fma_f32 v13, -0.5, v13, v9
	v_add_f32_e32 v9, v2, v24
	s_waitcnt vmcnt(0)
	v_mul_f32_e32 v2, v15, v65
	v_mul_f32_e32 v3, v12, v67
	v_fma_f32 v2, v23, v64, -v2
	v_fma_f32 v3, v18, v66, -v3
	v_add_f32_e32 v5, v2, v3
	v_mov_b32_e32 v19, v13
	v_fma_f32 v24, -0.5, v5, v16
	v_mul_f32_e32 v5, v23, v65
	v_fmac_f32_e32 v19, 0x3f5db3d7, v29
	v_fmac_f32_e32 v13, 0xbf5db3d7, v29
	v_fmac_f32_e32 v5, v15, v64
	v_mul_f32_e32 v15, v18, v67
	v_sub_f32_e32 v29, v2, v3
	v_add_f32_e32 v2, v16, v2
	v_fmac_f32_e32 v15, v12, v66
	v_add_f32_e32 v16, v2, v3
	v_add_f32_e32 v2, v8, v5
	v_sub_f32_e32 v12, v5, v15
	v_add_f32_e32 v17, v5, v15
	v_add_f32_e32 v15, v2, v15
	v_mov_b32_e32 v5, v11
	v_mov_b32_e32 v2, s13
	v_addc_co_u32_e32 v7, vcc, v2, v7, vcc
	v_lshlrev_b64 v[2:3], 3, v[4:5]
	v_fma_f32 v23, -0.5, v17, v8
	v_add_co_u32_e32 v2, vcc, v6, v2
	v_addc_co_u32_e32 v3, vcc, v7, v3, vcc
	v_mov_b32_e32 v18, v24
	v_mov_b32_e32 v17, v23
	v_add_co_u32_e32 v5, vcc, s0, v2
	v_mul_hi_u32 v7, v70, s1
	v_fmac_f32_e32 v18, 0xbf5db3d7, v12
	v_fmac_f32_e32 v17, 0x3f5db3d7, v29
	v_addc_co_u32_e32 v6, vcc, 0, v3, vcc
	s_movk_i32 s0, 0x2000
	v_fmac_f32_e32 v24, 0x3f5db3d7, v12
	v_fmac_f32_e32 v23, 0xbf5db3d7, v29
	global_store_dwordx2 v[2:3], v[15:16], off
	global_store_dwordx2 v[2:3], v[23:24], off offset:3840
	global_store_dwordx2 v[5:6], v[17:18], off offset:3584
	;; [unrolled: 1-line block ×4, first 2 shown]
	v_add_co_u32_e32 v5, vcc, s0, v2
	v_addc_co_u32_e32 v6, vcc, 0, v3, vcc
	global_store_dwordx2 v[5:6], v[19:20], off offset:208
	v_lshrrev_b32_e32 v5, 8, v7
	v_mul_u32_u24_e32 v10, 0x3c0, v5
	v_lshlrev_b64 v[5:6], 3, v[10:11]
	v_add_co_u32_e32 v5, vcc, v2, v5
	v_addc_co_u32_e32 v6, vcc, v3, v6, vcc
	v_add_co_u32_e32 v7, vcc, s4, v5
	v_addc_co_u32_e32 v8, vcc, 0, v6, vcc
	global_store_dwordx2 v[5:6], v[31:32], off offset:1440
	global_store_dwordx2 v[7:8], v[48:49], off offset:3840
	v_mul_hi_u32 v7, v41, s1
	v_add_co_u32_e32 v5, vcc, s0, v5
	v_addc_co_u32_e32 v6, vcc, 0, v6, vcc
	global_store_dwordx2 v[5:6], v[50:51], off offset:928
	v_lshrrev_b32_e32 v5, 8, v7
	v_mul_u32_u24_e32 v10, 0x3c0, v5
	v_lshlrev_b64 v[5:6], 3, v[10:11]
	s_movk_i32 s4, 0x870
	v_add_co_u32_e32 v5, vcc, v2, v5
	v_addc_co_u32_e32 v6, vcc, v3, v6, vcc
	v_add_co_u32_e32 v7, vcc, s4, v5
	v_addc_co_u32_e32 v8, vcc, 0, v6, vcc
	global_store_dwordx2 v[5:6], v[33:34], off offset:2160
	global_store_dwordx2 v[7:8], v[25:26], off offset:3840
	v_mul_hi_u32 v7, v40, s1
	v_add_co_u32_e32 v5, vcc, s0, v5
	v_addc_co_u32_e32 v6, vcc, 0, v6, vcc
	global_store_dwordx2 v[5:6], v[46:47], off offset:1648
	v_lshrrev_b32_e32 v5, 8, v7
	v_mul_u32_u24_e32 v10, 0x3c0, v5
	v_lshlrev_b64 v[5:6], 3, v[10:11]
	v_add_co_u32_e32 v5, vcc, v2, v5
	v_addc_co_u32_e32 v6, vcc, v3, v6, vcc
	v_add_co_u32_e32 v7, vcc, 0xb40, v5
	v_addc_co_u32_e32 v8, vcc, 0, v6, vcc
	global_store_dwordx2 v[5:6], v[35:36], off offset:2880
	global_store_dwordx2 v[7:8], v[27:28], off offset:3840
	v_add_co_u32_e32 v5, vcc, 0x2000, v5
	v_addc_co_u32_e32 v6, vcc, 0, v6, vcc
	global_store_dwordx2 v[5:6], v[21:22], off offset:2368
	s_and_b64 exec, exec, s[2:3]
	s_cbranch_execz .LBB0_32
; %bb.31:
	v_subrev_u32_e32 v4, 30, v4
	v_cndmask_b32_e64 v4, v4, v42, s[2:3]
	v_lshlrev_b32_e32 v10, 1, v4
	v_lshlrev_b64 v[4:5], 3, v[10:11]
	v_mov_b32_e32 v6, s9
	v_add_co_u32_e32 v4, vcc, s8, v4
	v_addc_co_u32_e32 v5, vcc, v6, v5, vcc
	global_load_dwordx4 v[4:7], v[4:5], off offset:3760
	v_add_co_u32_e32 v8, vcc, 0x1000, v2
	v_addc_co_u32_e32 v9, vcc, 0, v3, vcc
	v_add_co_u32_e32 v10, vcc, 0x2000, v2
	v_addc_co_u32_e32 v11, vcc, 0, v3, vcc
	s_waitcnt vmcnt(0)
	v_mul_f32_e32 v12, v45, v5
	v_mul_f32_e32 v5, v44, v5
	;; [unrolled: 1-line block ×4, first 2 shown]
	v_fmac_f32_e32 v12, v44, v4
	v_fma_f32 v4, v45, v4, -v5
	v_fmac_f32_e32 v13, v38, v6
	v_fma_f32 v5, v39, v6, -v7
	v_add_f32_e32 v7, v12, v13
	v_add_f32_e32 v16, v4, v5
	v_add_f32_e32 v6, v0, v12
	v_add_f32_e32 v15, v1, v4
	v_fmac_f32_e32 v0, -0.5, v7
	v_fmac_f32_e32 v1, -0.5, v16
	v_sub_f32_e32 v14, v4, v5
	v_sub_f32_e32 v12, v12, v13
	v_add_f32_e32 v4, v6, v13
	v_mov_b32_e32 v6, v0
	v_mov_b32_e32 v7, v1
	v_add_f32_e32 v5, v15, v5
	v_fmac_f32_e32 v6, 0xbf5db3d7, v14
	v_fmac_f32_e32 v7, 0x3f5db3d7, v12
	;; [unrolled: 1-line block ×4, first 2 shown]
	global_store_dwordx2 v[2:3], v[4:5], off offset:3600
	global_store_dwordx2 v[8:9], v[6:7], off offset:3344
	;; [unrolled: 1-line block ×3, first 2 shown]
.LBB0_32:
	s_endpgm
	.section	.rodata,"a",@progbits
	.p2align	6, 0x0
	.amdhsa_kernel fft_rtc_back_len1440_factors_10_16_3_3_wgs_90_tpt_90_halfLds_sp_ip_CI_unitstride_sbrr_dirReg
		.amdhsa_group_segment_fixed_size 0
		.amdhsa_private_segment_fixed_size 0
		.amdhsa_kernarg_size 88
		.amdhsa_user_sgpr_count 6
		.amdhsa_user_sgpr_private_segment_buffer 1
		.amdhsa_user_sgpr_dispatch_ptr 0
		.amdhsa_user_sgpr_queue_ptr 0
		.amdhsa_user_sgpr_kernarg_segment_ptr 1
		.amdhsa_user_sgpr_dispatch_id 0
		.amdhsa_user_sgpr_flat_scratch_init 0
		.amdhsa_user_sgpr_private_segment_size 0
		.amdhsa_uses_dynamic_stack 0
		.amdhsa_system_sgpr_private_segment_wavefront_offset 0
		.amdhsa_system_sgpr_workgroup_id_x 1
		.amdhsa_system_sgpr_workgroup_id_y 0
		.amdhsa_system_sgpr_workgroup_id_z 0
		.amdhsa_system_sgpr_workgroup_info 0
		.amdhsa_system_vgpr_workitem_id 0
		.amdhsa_next_free_vgpr 82
		.amdhsa_next_free_sgpr 22
		.amdhsa_reserve_vcc 1
		.amdhsa_reserve_flat_scratch 0
		.amdhsa_float_round_mode_32 0
		.amdhsa_float_round_mode_16_64 0
		.amdhsa_float_denorm_mode_32 3
		.amdhsa_float_denorm_mode_16_64 3
		.amdhsa_dx10_clamp 1
		.amdhsa_ieee_mode 1
		.amdhsa_fp16_overflow 0
		.amdhsa_exception_fp_ieee_invalid_op 0
		.amdhsa_exception_fp_denorm_src 0
		.amdhsa_exception_fp_ieee_div_zero 0
		.amdhsa_exception_fp_ieee_overflow 0
		.amdhsa_exception_fp_ieee_underflow 0
		.amdhsa_exception_fp_ieee_inexact 0
		.amdhsa_exception_int_div_zero 0
	.end_amdhsa_kernel
	.text
.Lfunc_end0:
	.size	fft_rtc_back_len1440_factors_10_16_3_3_wgs_90_tpt_90_halfLds_sp_ip_CI_unitstride_sbrr_dirReg, .Lfunc_end0-fft_rtc_back_len1440_factors_10_16_3_3_wgs_90_tpt_90_halfLds_sp_ip_CI_unitstride_sbrr_dirReg
                                        ; -- End function
	.section	.AMDGPU.csdata,"",@progbits
; Kernel info:
; codeLenInByte = 8700
; NumSgprs: 26
; NumVgprs: 82
; ScratchSize: 0
; MemoryBound: 0
; FloatMode: 240
; IeeeMode: 1
; LDSByteSize: 0 bytes/workgroup (compile time only)
; SGPRBlocks: 3
; VGPRBlocks: 20
; NumSGPRsForWavesPerEU: 26
; NumVGPRsForWavesPerEU: 82
; Occupancy: 3
; WaveLimiterHint : 1
; COMPUTE_PGM_RSRC2:SCRATCH_EN: 0
; COMPUTE_PGM_RSRC2:USER_SGPR: 6
; COMPUTE_PGM_RSRC2:TRAP_HANDLER: 0
; COMPUTE_PGM_RSRC2:TGID_X_EN: 1
; COMPUTE_PGM_RSRC2:TGID_Y_EN: 0
; COMPUTE_PGM_RSRC2:TGID_Z_EN: 0
; COMPUTE_PGM_RSRC2:TIDIG_COMP_CNT: 0
	.type	__hip_cuid_a5601e4f020eaa77,@object ; @__hip_cuid_a5601e4f020eaa77
	.section	.bss,"aw",@nobits
	.globl	__hip_cuid_a5601e4f020eaa77
__hip_cuid_a5601e4f020eaa77:
	.byte	0                               ; 0x0
	.size	__hip_cuid_a5601e4f020eaa77, 1

	.ident	"AMD clang version 19.0.0git (https://github.com/RadeonOpenCompute/llvm-project roc-6.4.0 25133 c7fe45cf4b819c5991fe208aaa96edf142730f1d)"
	.section	".note.GNU-stack","",@progbits
	.addrsig
	.addrsig_sym __hip_cuid_a5601e4f020eaa77
	.amdgpu_metadata
---
amdhsa.kernels:
  - .args:
      - .actual_access:  read_only
        .address_space:  global
        .offset:         0
        .size:           8
        .value_kind:     global_buffer
      - .offset:         8
        .size:           8
        .value_kind:     by_value
      - .actual_access:  read_only
        .address_space:  global
        .offset:         16
        .size:           8
        .value_kind:     global_buffer
      - .actual_access:  read_only
        .address_space:  global
        .offset:         24
        .size:           8
        .value_kind:     global_buffer
      - .offset:         32
        .size:           8
        .value_kind:     by_value
      - .actual_access:  read_only
        .address_space:  global
        .offset:         40
        .size:           8
        .value_kind:     global_buffer
      - .actual_access:  read_only
        .address_space:  global
        .offset:         48
        .size:           8
        .value_kind:     global_buffer
      - .offset:         56
        .size:           4
        .value_kind:     by_value
      - .actual_access:  read_only
        .address_space:  global
        .offset:         64
        .size:           8
        .value_kind:     global_buffer
      - .actual_access:  read_only
        .address_space:  global
        .offset:         72
        .size:           8
        .value_kind:     global_buffer
      - .address_space:  global
        .offset:         80
        .size:           8
        .value_kind:     global_buffer
    .group_segment_fixed_size: 0
    .kernarg_segment_align: 8
    .kernarg_segment_size: 88
    .language:       OpenCL C
    .language_version:
      - 2
      - 0
    .max_flat_workgroup_size: 90
    .name:           fft_rtc_back_len1440_factors_10_16_3_3_wgs_90_tpt_90_halfLds_sp_ip_CI_unitstride_sbrr_dirReg
    .private_segment_fixed_size: 0
    .sgpr_count:     26
    .sgpr_spill_count: 0
    .symbol:         fft_rtc_back_len1440_factors_10_16_3_3_wgs_90_tpt_90_halfLds_sp_ip_CI_unitstride_sbrr_dirReg.kd
    .uniform_work_group_size: 1
    .uses_dynamic_stack: false
    .vgpr_count:     82
    .vgpr_spill_count: 0
    .wavefront_size: 64
amdhsa.target:   amdgcn-amd-amdhsa--gfx906
amdhsa.version:
  - 1
  - 2
...

	.end_amdgpu_metadata
